;; amdgpu-corpus repo=ROCm/rocFFT kind=compiled arch=gfx1201 opt=O3
	.text
	.amdgcn_target "amdgcn-amd-amdhsa--gfx1201"
	.amdhsa_code_object_version 6
	.protected	fft_rtc_fwd_len52_factors_13_4_wgs_208_tpt_13_half_op_CI_CI_sbcc_twdbase6_3step ; -- Begin function fft_rtc_fwd_len52_factors_13_4_wgs_208_tpt_13_half_op_CI_CI_sbcc_twdbase6_3step
	.globl	fft_rtc_fwd_len52_factors_13_4_wgs_208_tpt_13_half_op_CI_CI_sbcc_twdbase6_3step
	.p2align	8
	.type	fft_rtc_fwd_len52_factors_13_4_wgs_208_tpt_13_half_op_CI_CI_sbcc_twdbase6_3step,@function
fft_rtc_fwd_len52_factors_13_4_wgs_208_tpt_13_half_op_CI_CI_sbcc_twdbase6_3step: ; @fft_rtc_fwd_len52_factors_13_4_wgs_208_tpt_13_half_op_CI_CI_sbcc_twdbase6_3step
; %bb.0:
	s_clause 0x1
	s_load_b256 s[4:11], s[0:1], 0x8
	s_load_b64 s[26:27], s[0:1], 0x28
	s_mov_b32 s2, ttmp9
	s_mov_b32 s3, exec_lo
	v_cmpx_gt_u32_e32 0xc0, v0
	s_cbranch_execz .LBB0_2
; %bb.1:
	v_lshlrev_b32_e32 v1, 2, v0
	s_wait_kmcnt 0x0
	global_load_b32 v2, v1, s[4:5]
	v_add_nc_u32_e32 v1, 0, v1
	s_wait_loadcnt 0x0
	ds_store_b32 v1, v2 offset:3328
.LBB0_2:
	s_or_b32 exec_lo, exec_lo, s3
	s_wait_kmcnt 0x0
	s_load_b64 s[28:29], s[8:9], 0x8
	s_mov_b32 s3, 0
	s_mov_b64 s[20:21], 0
	s_wait_kmcnt 0x0
	s_add_nc_u64 s[4:5], s[28:29], -1
	s_delay_alu instid0(SALU_CYCLE_1) | instskip(NEXT) | instid1(SALU_CYCLE_1)
	s_lshr_b64 s[4:5], s[4:5], 4
	s_add_nc_u64 s[34:35], s[4:5], 1
	s_delay_alu instid0(SALU_CYCLE_1) | instskip(NEXT) | instid1(VALU_DEP_1)
	v_cmp_lt_u64_e64 s4, s[2:3], s[34:35]
	s_and_b32 vcc_lo, exec_lo, s4
	s_cbranch_vccnz .LBB0_4
; %bb.3:
	v_cvt_f32_u32_e32 v1, s34
	s_sub_co_i32 s5, 0, s34
	s_mov_b32 s21, s3
	s_delay_alu instid0(VALU_DEP_1) | instskip(NEXT) | instid1(TRANS32_DEP_1)
	v_rcp_iflag_f32_e32 v1, v1
	v_mul_f32_e32 v1, 0x4f7ffffe, v1
	s_delay_alu instid0(VALU_DEP_1) | instskip(NEXT) | instid1(VALU_DEP_1)
	v_cvt_u32_f32_e32 v1, v1
	v_readfirstlane_b32 s4, v1
	s_delay_alu instid0(VALU_DEP_1) | instskip(NEXT) | instid1(SALU_CYCLE_1)
	s_mul_i32 s5, s5, s4
	s_mul_hi_u32 s5, s4, s5
	s_delay_alu instid0(SALU_CYCLE_1) | instskip(NEXT) | instid1(SALU_CYCLE_1)
	s_add_co_i32 s4, s4, s5
	s_mul_hi_u32 s4, s2, s4
	s_delay_alu instid0(SALU_CYCLE_1) | instskip(SKIP_2) | instid1(SALU_CYCLE_1)
	s_mul_i32 s5, s4, s34
	s_add_co_i32 s12, s4, 1
	s_sub_co_i32 s5, s2, s5
	s_sub_co_i32 s13, s5, s34
	s_cmp_ge_u32 s5, s34
	s_cselect_b32 s4, s12, s4
	s_cselect_b32 s5, s13, s5
	s_add_co_i32 s12, s4, 1
	s_cmp_ge_u32 s5, s34
	s_cselect_b32 s20, s12, s4
.LBB0_4:
	s_load_b128 s[16:19], s[10:11], 0x0
	s_load_b128 s[12:15], s[26:27], 0x0
	s_load_b64 s[24:25], s[0:1], 0x0
	v_cmp_lt_u64_e64 s30, s[6:7], 3
	s_mul_u64 s[4:5], s[20:21], s[34:35]
	s_delay_alu instid0(SALU_CYCLE_1) | instskip(NEXT) | instid1(SALU_CYCLE_1)
	s_sub_nc_u64 s[4:5], s[2:3], s[4:5]
	s_lshl_b64 s[22:23], s[4:5], 4
	s_delay_alu instid0(VALU_DEP_1)
	s_and_b32 vcc_lo, exec_lo, s30
	s_wait_kmcnt 0x0
	s_mul_u64 s[30:31], s[18:19], s[22:23]
	s_mul_u64 s[4:5], s[14:15], s[22:23]
	s_cbranch_vccnz .LBB0_14
; %bb.5:
	s_add_nc_u64 s[36:37], s[26:27], 16
	s_add_nc_u64 s[38:39], s[10:11], 16
	;; [unrolled: 1-line block ×3, first 2 shown]
	s_mov_b64 s[40:41], 2
	s_mov_b32 s42, 0
.LBB0_6:                                ; =>This Inner Loop Header: Depth=1
	s_load_b64 s[44:45], s[8:9], 0x0
                                        ; implicit-def: $sgpr48_sgpr49
	s_wait_kmcnt 0x0
	s_or_b64 s[46:47], s[20:21], s[44:45]
	s_delay_alu instid0(SALU_CYCLE_1)
	s_mov_b32 s43, s47
	s_mov_b32 s47, -1
	s_cmp_lg_u64 s[42:43], 0
	s_cbranch_scc0 .LBB0_8
; %bb.7:                                ;   in Loop: Header=BB0_6 Depth=1
	s_cvt_f32_u32 s33, s44
	s_cvt_f32_u32 s43, s45
	s_sub_nc_u64 s[50:51], 0, s[44:45]
	s_mov_b32 s47, 0
	s_mov_b32 s55, s42
	s_wait_alu 0xfffe
	s_fmamk_f32 s33, s43, 0x4f800000, s33
	s_wait_alu 0xfffe
	s_delay_alu instid0(SALU_CYCLE_2) | instskip(NEXT) | instid1(TRANS32_DEP_1)
	v_s_rcp_f32 s33, s33
	s_mul_f32 s33, s33, 0x5f7ffffc
	s_wait_alu 0xfffe
	s_delay_alu instid0(SALU_CYCLE_2) | instskip(NEXT) | instid1(SALU_CYCLE_3)
	s_mul_f32 s43, s33, 0x2f800000
	s_trunc_f32 s43, s43
	s_delay_alu instid0(SALU_CYCLE_3) | instskip(SKIP_2) | instid1(SALU_CYCLE_1)
	s_fmamk_f32 s33, s43, 0xcf800000, s33
	s_cvt_u32_f32 s49, s43
	s_wait_alu 0xfffe
	s_cvt_u32_f32 s48, s33
	s_wait_alu 0xfffe
	s_delay_alu instid0(SALU_CYCLE_2)
	s_mul_u64 s[52:53], s[50:51], s[48:49]
	s_wait_alu 0xfffe
	s_mul_hi_u32 s57, s48, s53
	s_mul_i32 s56, s48, s53
	s_mul_hi_u32 s46, s48, s52
	s_mul_i32 s43, s49, s52
	s_add_nc_u64 s[56:57], s[46:47], s[56:57]
	s_mul_hi_u32 s33, s49, s52
	s_mul_hi_u32 s58, s49, s53
	s_add_co_u32 s43, s56, s43
	s_wait_alu 0xfffe
	s_add_co_ci_u32 s54, s57, s33
	s_mul_i32 s52, s49, s53
	s_add_co_ci_u32 s53, s58, 0
	s_wait_alu 0xfffe
	s_add_nc_u64 s[52:53], s[54:55], s[52:53]
	s_wait_alu 0xfffe
	v_add_co_u32 v1, s33, s48, s52
	s_delay_alu instid0(VALU_DEP_1) | instskip(SKIP_1) | instid1(VALU_DEP_1)
	s_cmp_lg_u32 s33, 0
	s_add_co_ci_u32 s49, s49, s53
	v_readfirstlane_b32 s48, v1
	s_mov_b32 s53, s42
	s_wait_alu 0xfffe
	s_delay_alu instid0(VALU_DEP_1)
	s_mul_u64 s[50:51], s[50:51], s[48:49]
	s_wait_alu 0xfffe
	s_mul_hi_u32 s55, s48, s51
	s_mul_i32 s54, s48, s51
	s_mul_hi_u32 s46, s48, s50
	s_mul_i32 s43, s49, s50
	s_add_nc_u64 s[54:55], s[46:47], s[54:55]
	s_mul_hi_u32 s33, s49, s50
	s_mul_hi_u32 s48, s49, s51
	s_add_co_u32 s43, s54, s43
	s_wait_alu 0xfffe
	s_add_co_ci_u32 s52, s55, s33
	s_mul_i32 s50, s49, s51
	s_add_co_ci_u32 s51, s48, 0
	s_wait_alu 0xfffe
	s_add_nc_u64 s[50:51], s[52:53], s[50:51]
	s_wait_alu 0xfffe
	v_add_co_u32 v1, s33, v1, s50
	s_delay_alu instid0(VALU_DEP_1) | instskip(SKIP_1) | instid1(VALU_DEP_1)
	s_cmp_lg_u32 s33, 0
	s_add_co_ci_u32 s33, s49, s51
	v_readfirstlane_b32 s43, v1
	s_wait_alu 0xfffe
	s_mul_hi_u32 s49, s20, s33
	s_mul_i32 s48, s20, s33
	s_mul_hi_u32 s51, s21, s33
	s_mul_i32 s50, s21, s33
	;; [unrolled: 2-line block ×3, first 2 shown]
	s_wait_alu 0xfffe
	s_add_nc_u64 s[48:49], s[46:47], s[48:49]
	s_mul_hi_u32 s43, s21, s43
	s_wait_alu 0xfffe
	s_add_co_u32 s33, s48, s33
	s_add_co_ci_u32 s52, s49, s43
	s_add_co_ci_u32 s51, s51, 0
	s_wait_alu 0xfffe
	s_add_nc_u64 s[48:49], s[52:53], s[50:51]
	s_wait_alu 0xfffe
	s_mul_u64 s[50:51], s[44:45], s[48:49]
	s_add_nc_u64 s[52:53], s[48:49], 1
	s_wait_alu 0xfffe
	v_sub_co_u32 v1, s33, s20, s50
	s_sub_co_i32 s43, s21, s51
	s_cmp_lg_u32 s33, 0
	s_add_nc_u64 s[54:55], s[48:49], 2
	s_delay_alu instid0(VALU_DEP_1) | instskip(SKIP_2) | instid1(VALU_DEP_1)
	v_sub_co_u32 v2, s46, v1, s44
	s_sub_co_ci_u32 s43, s43, s45
	s_cmp_lg_u32 s46, 0
	v_readfirstlane_b32 s46, v2
	s_sub_co_ci_u32 s43, s43, 0
	s_delay_alu instid0(SALU_CYCLE_1) | instskip(SKIP_1) | instid1(VALU_DEP_1)
	s_cmp_ge_u32 s43, s45
	s_cselect_b32 s50, -1, 0
	s_cmp_ge_u32 s46, s44
	s_cselect_b32 s46, -1, 0
	s_cmp_eq_u32 s43, s45
	s_wait_alu 0xfffe
	s_cselect_b32 s43, s46, s50
	s_delay_alu instid0(SALU_CYCLE_1)
	s_cmp_lg_u32 s43, 0
	s_cselect_b32 s43, s54, s52
	s_cselect_b32 s46, s55, s53
	s_cmp_lg_u32 s33, 0
	v_readfirstlane_b32 s33, v1
	s_sub_co_ci_u32 s50, s21, s51
	s_wait_alu 0xfffe
	s_cmp_ge_u32 s50, s45
	s_cselect_b32 s51, -1, 0
	s_cmp_ge_u32 s33, s44
	s_cselect_b32 s33, -1, 0
	s_cmp_eq_u32 s50, s45
	s_wait_alu 0xfffe
	s_cselect_b32 s33, s33, s51
	s_wait_alu 0xfffe
	s_cmp_lg_u32 s33, 0
	s_cselect_b32 s49, s46, s49
	s_cselect_b32 s48, s43, s48
.LBB0_8:                                ;   in Loop: Header=BB0_6 Depth=1
	s_and_not1_b32 vcc_lo, exec_lo, s47
	s_cbranch_vccnz .LBB0_10
; %bb.9:                                ;   in Loop: Header=BB0_6 Depth=1
	v_cvt_f32_u32_e32 v1, s44
	s_sub_co_i32 s43, 0, s44
	s_mov_b32 s49, s42
	s_delay_alu instid0(VALU_DEP_1) | instskip(NEXT) | instid1(TRANS32_DEP_1)
	v_rcp_iflag_f32_e32 v1, v1
	v_mul_f32_e32 v1, 0x4f7ffffe, v1
	s_delay_alu instid0(VALU_DEP_1) | instskip(NEXT) | instid1(VALU_DEP_1)
	v_cvt_u32_f32_e32 v1, v1
	v_readfirstlane_b32 s33, v1
	s_delay_alu instid0(VALU_DEP_1) | instskip(NEXT) | instid1(SALU_CYCLE_1)
	s_mul_i32 s43, s43, s33
	s_mul_hi_u32 s43, s33, s43
	s_delay_alu instid0(SALU_CYCLE_1)
	s_add_co_i32 s33, s33, s43
	s_wait_alu 0xfffe
	s_mul_hi_u32 s33, s20, s33
	s_wait_alu 0xfffe
	s_mul_i32 s43, s33, s44
	s_add_co_i32 s46, s33, 1
	s_sub_co_i32 s43, s20, s43
	s_delay_alu instid0(SALU_CYCLE_1)
	s_sub_co_i32 s47, s43, s44
	s_cmp_ge_u32 s43, s44
	s_cselect_b32 s33, s46, s33
	s_cselect_b32 s43, s47, s43
	s_wait_alu 0xfffe
	s_add_co_i32 s46, s33, 1
	s_cmp_ge_u32 s43, s44
	s_cselect_b32 s48, s46, s33
.LBB0_10:                               ;   in Loop: Header=BB0_6 Depth=1
	s_load_b64 s[46:47], s[38:39], 0x0
	s_load_b64 s[50:51], s[36:37], 0x0
	s_add_nc_u64 s[40:41], s[40:41], 1
	s_mul_u64 s[34:35], s[44:45], s[34:35]
	s_wait_alu 0xfffe
	v_cmp_ge_u64_e64 s33, s[40:41], s[6:7]
	s_mul_u64 s[44:45], s[48:49], s[44:45]
	s_add_nc_u64 s[36:37], s[36:37], 8
	s_wait_alu 0xfffe
	s_sub_nc_u64 s[20:21], s[20:21], s[44:45]
	s_add_nc_u64 s[38:39], s[38:39], 8
	s_add_nc_u64 s[8:9], s[8:9], 8
	s_and_b32 vcc_lo, exec_lo, s33
	s_wait_kmcnt 0x0
	s_wait_alu 0xfffe
	s_mul_u64 s[44:45], s[46:47], s[20:21]
	s_mul_u64 s[20:21], s[50:51], s[20:21]
	s_wait_alu 0xfffe
	s_add_nc_u64 s[30:31], s[44:45], s[30:31]
	s_add_nc_u64 s[4:5], s[20:21], s[4:5]
	s_cbranch_vccnz .LBB0_12
; %bb.11:                               ;   in Loop: Header=BB0_6 Depth=1
	s_mov_b64 s[20:21], s[48:49]
	s_branch .LBB0_6
.LBB0_12:
	v_cmp_lt_u64_e64 s3, s[2:3], s[34:35]
	s_mov_b64 s[20:21], 0
	s_delay_alu instid0(VALU_DEP_1)
	s_and_b32 vcc_lo, exec_lo, s3
	s_cbranch_vccnz .LBB0_14
; %bb.13:
	v_cvt_f32_u32_e32 v1, s34
	s_sub_co_i32 s8, 0, s34
	s_mov_b32 s21, 0
	s_delay_alu instid0(VALU_DEP_1) | instskip(NEXT) | instid1(TRANS32_DEP_1)
	v_rcp_iflag_f32_e32 v1, v1
	v_mul_f32_e32 v1, 0x4f7ffffe, v1
	s_delay_alu instid0(VALU_DEP_1) | instskip(NEXT) | instid1(VALU_DEP_1)
	v_cvt_u32_f32_e32 v1, v1
	v_readfirstlane_b32 s3, v1
	s_delay_alu instid0(VALU_DEP_1) | instskip(NEXT) | instid1(SALU_CYCLE_1)
	s_mul_i32 s8, s8, s3
	s_mul_hi_u32 s8, s3, s8
	s_delay_alu instid0(SALU_CYCLE_1) | instskip(SKIP_4) | instid1(SALU_CYCLE_1)
	s_add_co_i32 s3, s3, s8
	s_wait_alu 0xfffe
	s_mul_hi_u32 s3, s2, s3
	s_wait_alu 0xfffe
	s_mul_i32 s8, s3, s34
	s_sub_co_i32 s2, s2, s8
	s_add_co_i32 s8, s3, 1
	s_wait_alu 0xfffe
	s_sub_co_i32 s9, s2, s34
	s_cmp_ge_u32 s2, s34
	s_cselect_b32 s3, s8, s3
	s_cselect_b32 s2, s9, s2
	s_wait_alu 0xfffe
	s_add_co_i32 s8, s3, 1
	s_cmp_ge_u32 s2, s34
	s_cselect_b32 s20, s8, s3
.LBB0_14:
	s_load_b128 s[0:3], s[0:1], 0x60
	v_and_b32_e32 v14, 15, v0
	v_lshrrev_b32_e32 v15, 4, v0
	v_mov_b32_e32 v2, s23
	s_add_nc_u64 s[8:9], s[22:23], 16
	s_lshl_b64 s[6:7], s[6:7], 3
	v_or_b32_e32 v1, s22, v14
	v_lshlrev_b32_e32 v17, 2, v15
	v_cmp_le_u64_e64 s8, s[8:9], s[28:29]
	v_mul_u32_u24_e32 v16, 0xd0, v14
	v_add_nc_u32_e32 v18, 13, v15
	v_cmp_gt_u64_e32 vcc_lo, s[28:29], v[1:2]
	v_add_nc_u32_e32 v13, 26, v15
	v_add_nc_u32_e32 v12, 39, v15
	s_or_b32 s8, s8, vcc_lo
	s_wait_alu 0xfffe
	s_and_saveexec_b32 s9, s8
	s_cbranch_execz .LBB0_16
; %bb.15:
	s_add_nc_u64 s[10:11], s[10:11], s[6:7]
	v_mad_co_u64_u32 v[1:2], null, s18, v14, 0
	s_load_b64 s[10:11], s[10:11], 0x0
	v_mad_co_u64_u32 v[3:4], null, s16, v15, 0
	v_mad_co_u64_u32 v[5:6], null, s16, v18, 0
	;; [unrolled: 1-line block ×3, first 2 shown]
	s_lshl_b64 s[28:29], s[30:31], 2
	s_delay_alu instid0(VALU_DEP_3) | instskip(SKIP_1) | instid1(VALU_DEP_4)
	v_mad_co_u64_u32 v[9:10], null, s19, v14, v[2:3]
	v_mad_co_u64_u32 v[10:11], null, s16, v12, 0
	;; [unrolled: 1-line block ×3, first 2 shown]
	s_delay_alu instid0(VALU_DEP_4) | instskip(NEXT) | instid1(VALU_DEP_4)
	v_mad_co_u64_u32 v[20:21], null, s17, v18, v[6:7]
	v_mov_b32_e32 v2, v9
	v_mad_co_u64_u32 v[8:9], null, s17, v13, v[8:9]
	v_mov_b32_e32 v9, v11
	s_wait_kmcnt 0x0
	s_mul_u64 s[10:11], s[10:11], s[20:21]
	v_lshlrev_b64_e32 v[1:2], 2, v[1:2]
	s_lshl_b64 s[10:11], s[10:11], 2
	v_mov_b32_e32 v4, v19
	s_add_nc_u64 s[0:1], s[0:1], s[10:11]
	v_mov_b32_e32 v6, v20
	s_wait_alu 0xfffe
	s_add_nc_u64 s[0:1], s[0:1], s[28:29]
	s_delay_alu instid0(SALU_CYCLE_1)
	v_add_co_u32 v19, vcc_lo, s0, v1
	v_add_co_ci_u32_e32 v20, vcc_lo, s1, v2, vcc_lo
	v_lshlrev_b64_e32 v[1:2], 2, v[3:4]
	v_mad_co_u64_u32 v[3:4], null, s17, v12, v[9:10]
	v_lshlrev_b64_e32 v[4:5], 2, v[5:6]
	v_lshlrev_b64_e32 v[6:7], 2, v[7:8]
	s_delay_alu instid0(VALU_DEP_4)
	v_add_co_u32 v1, vcc_lo, v19, v1
	s_wait_alu 0xfffd
	v_add_co_ci_u32_e32 v2, vcc_lo, v20, v2, vcc_lo
	v_mov_b32_e32 v11, v3
	v_add_co_u32 v3, vcc_lo, v19, v4
	s_wait_alu 0xfffd
	v_add_co_ci_u32_e32 v4, vcc_lo, v20, v5, vcc_lo
	s_delay_alu instid0(VALU_DEP_3) | instskip(SKIP_3) | instid1(VALU_DEP_3)
	v_lshlrev_b64_e32 v[8:9], 2, v[10:11]
	v_add_co_u32 v5, vcc_lo, v19, v6
	s_wait_alu 0xfffd
	v_add_co_ci_u32_e32 v6, vcc_lo, v20, v7, vcc_lo
	v_add_co_u32 v7, vcc_lo, v19, v8
	s_wait_alu 0xfffd
	v_add_co_ci_u32_e32 v8, vcc_lo, v20, v9, vcc_lo
	s_clause 0x3
	global_load_b32 v1, v[1:2], off
	global_load_b32 v2, v[3:4], off
	;; [unrolled: 1-line block ×4, first 2 shown]
	v_add3_u32 v5, 0, v16, v17
	s_wait_loadcnt 0x2
	ds_store_2addr_b32 v5, v1, v2 offset1:13
	s_wait_loadcnt 0x0
	ds_store_2addr_b32 v5, v3, v4 offset0:26 offset1:39
.LBB0_16:
	s_wait_alu 0xfffe
	s_or_b32 exec_lo, exec_lo, s9
	v_mul_hi_u32 v21, 0x13b13b14, v0
	global_wb scope:SCOPE_SE
	s_wait_dscnt 0x0
	s_wait_kmcnt 0x0
	s_barrier_signal -1
	s_barrier_wait -1
	global_inv scope:SCOPE_SE
	s_add_nc_u64 s[0:1], s[26:27], s[6:7]
	s_mov_b32 s6, exec_lo
	v_mul_u32_u24_e32 v1, 13, v21
	v_and_b32_e32 v2, 15, v21
	s_delay_alu instid0(VALU_DEP_2) | instskip(NEXT) | instid1(VALU_DEP_2)
	v_sub_nc_u32_e32 v22, v0, v1
	v_mul_u32_u24_e32 v0, 52, v2
	s_delay_alu instid0(VALU_DEP_2) | instskip(NEXT) | instid1(VALU_DEP_2)
	v_lshlrev_b32_e32 v1, 2, v22
	v_lshlrev_b32_e32 v34, 2, v0
	s_delay_alu instid0(VALU_DEP_2) | instskip(NEXT) | instid1(VALU_DEP_2)
	v_add_nc_u32_e32 v35, 0, v1
	v_add3_u32 v20, 0, v34, v1
	s_delay_alu instid0(VALU_DEP_2)
	v_add_nc_u32_e32 v19, v35, v34
	ds_load_b32 v23, v20
	ds_load_2addr_b32 v[10:11], v19 offset0:4 offset1:8
	ds_load_2addr_b32 v[8:9], v19 offset0:12 offset1:16
	;; [unrolled: 1-line block ×6, first 2 shown]
	global_wb scope:SCOPE_SE
	s_wait_dscnt 0x0
	s_barrier_signal -1
	s_barrier_wait -1
	global_inv scope:SCOPE_SE
	v_cmpx_gt_u32_e32 4, v22
	s_cbranch_execz .LBB0_18
; %bb.17:
	v_pk_add_f16 v24, v23, v10
	v_pk_add_f16 v29, v10, v1 neg_lo:[0,1] neg_hi:[0,1]
	v_pk_add_f16 v32, v1, v10
	v_pk_add_f16 v25, v8, v3 neg_lo:[0,1] neg_hi:[0,1]
	v_pk_add_f16 v30, v3, v8
	v_pk_add_f16 v10, v24, v11
	v_mul_i32_i24_e32 v36, 48, v22
	v_pk_add_f16 v27, v11, v0 neg_lo:[0,1] neg_hi:[0,1]
	v_pk_add_f16 v31, v0, v11
	v_pk_add_f16 v11, v6, v5 neg_lo:[0,1] neg_hi:[0,1]
	v_pk_add_f16 v8, v10, v8
	v_pk_add_f16 v26, v5, v6
	v_mul_f16_e32 v38, 0xb94e, v29
	v_lshrrev_b32_e32 v33, 16, v23
	v_pk_add_f16 v24, v9, v2 neg_lo:[0,1] neg_hi:[0,1]
	v_pk_add_f16 v37, v8, v9
	v_add3_u32 v8, v35, v36, v34
	v_lshrrev_b32_e32 v36, 16, v32
	v_lshrrev_b32_e32 v35, 16, v31
	v_pk_add_f16 v28, v2, v9
	v_pk_add_f16 v6, v37, v6
	v_mul_f16_e32 v37, 0x3bf1, v27
	v_fmamk_f16 v43, v36, 0xb9fd, v38
	v_mul_f16_e32 v39, 0xba95, v25
	v_lshrrev_b32_e32 v34, 16, v30
	v_pk_add_f16 v6, v6, v7
	v_lshrrev_b32_e32 v45, 16, v29
	v_add_f16_e32 v43, v33, v43
	v_pk_add_f16 v10, v7, v4 neg_lo:[0,1] neg_hi:[0,1]
	v_pk_add_f16 v9, v4, v7
	v_pk_add_f16 v42, v6, v4
	v_mul_f16_e32 v40, 0x33a8, v24
	v_lshrrev_b32_e32 v7, 16, v28
	v_lshrrev_b32_e32 v46, 16, v27
	v_mul_f16_e32 v47, 0xb94e, v45
	v_pk_add_f16 v5, v42, v5
	v_fmamk_f16 v42, v35, 0x2fb7, v37
	v_mul_f16_e32 v41, 0x3770, v11
	v_lshrrev_b32_e32 v6, 16, v26
	v_fma_f16 v48, v32, 0xb9fd, -v47
	v_pk_add_f16 v2, v5, v2
	v_fmamk_f16 v5, v34, 0x388b, v39
	v_add_f16_e32 v42, v42, v43
	v_lshrrev_b32_e32 v43, 16, v25
	v_mul_f16_e32 v44, 0xbb7b, v10
	v_pk_add_f16 v2, v2, v3
	v_fmamk_f16 v3, v7, 0xbbc4, v40
	v_add_f16_e32 v5, v5, v42
	v_mul_f16_e32 v42, 0x3bf1, v46
	v_lshrrev_b32_e32 v4, 16, v9
	v_pk_add_f16 v0, v2, v0
	v_fmamk_f16 v2, v6, 0x3b15, v41
	v_add_f16_e32 v3, v3, v5
	v_fma_f16 v5, v31, 0x2fb7, -v42
	v_add_f16_e32 v48, v23, v48
	v_mul_f16_e32 v49, 0xba95, v43
	v_lshrrev_b32_e32 v50, 16, v24
	v_pk_add_f16 v0, v0, v1
	v_add_f16_e32 v1, v2, v3
	v_fmamk_f16 v2, v4, 0xb5ac, v44
	v_add_f16_e32 v3, v5, v48
	v_fma_f16 v5, v30, 0x388b, -v49
	v_mul_f16_e32 v48, 0xbb7b, v29
	v_mul_f16_e32 v51, 0x33a8, v50
	v_lshrrev_b32_e32 v52, 16, v11
	v_add_f16_e32 v1, v2, v1
	v_add_f16_e32 v2, v5, v3
	v_fmamk_f16 v3, v36, 0xb5ac, v48
	v_mul_f16_e32 v5, 0x394e, v27
	v_fma_f16 v53, v28, 0xbbc4, -v51
	v_mul_f16_e32 v54, 0x3770, v52
	v_lshrrev_b32_e32 v55, 16, v10
	v_add_f16_e32 v3, v33, v3
	v_fmamk_f16 v56, v35, 0xb9fd, v5
	v_mul_f16_e32 v57, 0x3770, v25
	v_add_f16_e32 v2, v53, v2
	v_fma_f16 v53, v26, 0x3b15, -v54
	v_mul_f16_e32 v58, 0xbb7b, v55
	v_add_f16_e32 v3, v56, v3
	v_fmamk_f16 v56, v34, 0x3b15, v57
	v_mul_f16_e32 v59, 0xbbf1, v24
	v_add_f16_e32 v2, v53, v2
	v_fma_f16 v53, v9, 0xb5ac, -v58
	v_mul_f16_e32 v60, 0xbb7b, v45
	;; [unrolled: 6-line block ×5, first 2 shown]
	v_fma_f16 v38, v36, 0xb9fd, -v38
	v_add_f16_e32 v3, v56, v3
	v_fmamk_f16 v56, v36, 0x2fb7, v66
	v_mul_f16_e32 v68, 0xb3a8, v27
	v_add_f16_e32 v53, v64, v53
	v_fma_f16 v64, v28, 0x2fb7, -v67
	v_mul_f16_e32 v69, 0x33a8, v52
	v_add_f16_e32 v38, v33, v38
	v_fma_f16 v37, v35, 0x2fb7, -v37
	v_add_f16_e32 v56, v33, v56
	v_fmamk_f16 v70, v35, 0xbbc4, v68
	v_mul_f16_e32 v71, 0x3b7b, v25
	v_add_f16_e32 v53, v64, v53
	v_fma_f16 v64, v26, 0xbbc4, -v69
	v_mul_f16_e32 v72, 0xbbf1, v45
	v_add_f16_e32 v37, v37, v38
	;; [unrolled: 8-line block ×4, first 2 shown]
	v_fma_f16 v5, v35, 0xb9fd, -v5
	v_mul_f16_e32 v78, 0x3a95, v55
	v_add_f16_e32 v56, v70, v56
	v_fmamk_f16 v70, v6, 0x388b, v75
	v_add_f16_e32 v64, v76, v64
	v_fma_f16 v76, v30, 0xb5ac, -v77
	v_mul_f16_e32 v79, 0x3770, v50
	v_add_f16_e32 v5, v5, v38
	v_fma_f16 v38, v34, 0x3b15, -v57
	v_fma_f16 v80, v9, 0x388b, -v78
	v_add_f16_e32 v56, v70, v56
	v_add_f16_e32 v64, v76, v64
	v_fma_f16 v70, v28, 0x3b15, -v79
	v_mul_f16_e32 v76, 0xba95, v52
	v_add_f16_e32 v5, v38, v5
	v_fma_f16 v38, v7, 0x2fb7, -v59
	v_add_f16_e32 v53, v80, v53
	v_mul_f16_e32 v80, 0xba95, v29
	v_add_f16_e32 v64, v70, v64
	v_fma_f16 v70, v26, 0x388b, -v76
	v_add_f16_e32 v5, v38, v5
	v_fma_f16 v38, v6, 0xbbc4, -v61
	v_fmamk_f16 v83, v36, 0x388b, v80
	v_mul_f16_e32 v84, 0xbb7b, v27
	v_add_f16_e32 v64, v70, v64
	v_pk_mul_f16 v70, 0x3b15388b, v32
	v_fma_f16 v40, v7, 0xbbc4, -v40
	v_add_f16_e32 v5, v38, v5
	v_fma_f16 v38, v4, 0x388b, -v63
	v_mul_f16_e32 v81, 0xb9fd, v4
	v_add_f16_e32 v83, v33, v83
	v_fmamk_f16 v86, v35, 0xb5ac, v84
	v_mul_f16_e32 v87, 0xb3a8, v25
	v_pk_fma_f16 v88, 0xba95b770, v29, v70 op_sel:[0,0,1] op_sel_hi:[1,1,0]
	v_pk_fma_f16 v70, 0xba95b770, v29, v70 op_sel:[0,0,1] op_sel_hi:[1,1,0] neg_lo:[0,1,0] neg_hi:[0,1,0]
	v_pk_mul_f16 v89, 0x388bb5ac, v31
	v_add_f16_e32 v37, v40, v37
	v_fma_f16 v40, v6, 0x3b15, -v41
	v_add_f16_e32 v5, v38, v5
	v_fma_f16 v38, v36, 0x2fb7, -v66
	v_fma_f16 v36, v36, 0x388b, -v80
	v_fmamk_f16 v82, v10, 0xb94e, v81
	v_add_f16_e32 v83, v86, v83
	v_fmamk_f16 v86, v34, 0xbbc4, v87
	v_mul_f16_e32 v90, 0x394e, v24
	v_bfi_b32 v91, 0xffff, v88, v70
	v_pk_fma_f16 v92, 0xbb7bba95, v27, v89 op_sel:[0,0,1] op_sel_hi:[1,1,0]
	v_pk_fma_f16 v89, 0xbb7bba95, v27, v89 op_sel:[0,0,1] op_sel_hi:[1,1,0] neg_lo:[0,1,0] neg_hi:[0,1,0]
	v_pk_mul_f16 v93, 0x2fb7bbc4, v30
	v_add_f16_e32 v37, v40, v37
	v_fma_f16 v40, v4, 0xb5ac, -v44
	v_add_f16_e32 v38, v33, v38
	v_fma_f16 v44, v35, 0xbbc4, -v68
	v_add_f16_e32 v36, v33, v36
	v_fma_f16 v35, v35, 0xb5ac, -v84
	v_add_f16_e32 v56, v82, v56
	v_mul_f16_e32 v82, 0xb94e, v55
	v_add_f16_e32 v83, v86, v83
	v_fmamk_f16 v86, v7, 0xb9fd, v90
	v_pk_add_f16 v91, v23, v91 op_sel:[1,0] op_sel_hi:[0,1]
	v_bfi_b32 v94, 0xffff, v92, v89
	v_pk_fma_f16 v95, 0xb3a8bbf1, v25, v93 op_sel:[0,0,1] op_sel_hi:[1,1,0]
	v_pk_fma_f16 v93, 0xb3a8bbf1, v25, v93 op_sel:[0,0,1] op_sel_hi:[1,1,0] neg_lo:[0,1,0] neg_hi:[0,1,0]
	v_pk_mul_f16 v96, 0xb5acb9fd, v28
	v_mul_f16_e32 v45, 0xb770, v45
	v_add_f16_e32 v38, v44, v38
	v_fma_f16 v44, v34, 0xb5ac, -v71
	v_add_f16_e32 v35, v35, v36
	v_fma_f16 v34, v34, 0xbbc4, -v87
	v_fma_f16 v85, v9, 0xb9fd, -v82
	v_add_f16_e32 v83, v86, v83
	v_mul_f16_e32 v86, 0x3bf1, v11
	v_pk_add_f16 v91, v94, v91
	v_bfi_b32 v94, 0xffff, v95, v93
	v_pk_fma_f16 v97, 0x394ebb7b, v24, v96 op_sel:[0,0,1] op_sel_hi:[1,1,0]
	v_pk_fma_f16 v96, 0x394ebb7b, v24, v96 op_sel:[0,0,1] op_sel_hi:[1,1,0] neg_lo:[0,1,0] neg_hi:[0,1,0]
	v_fma_f16 v101, v32, 0x3b15, -v45
	v_mul_f16_e32 v46, 0xba95, v46
	v_fmac_f16_e32 v47, 0xb9fd, v32
	v_add_f16_e32 v38, v44, v38
	v_fma_f16 v44, v7, 0x3b15, -v73
	v_add_f16_e32 v33, v33, v70
	v_fmac_f16_e32 v45, 0x3b15, v32
	v_add_f16_e32 v34, v34, v35
	v_fma_f16 v7, v7, 0xb9fd, -v90
	v_fmamk_f16 v99, v6, 0x2fb7, v86
	v_mul_f16_e32 v100, 0x3770, v10
	v_pk_add_f16 v91, v94, v91
	v_bfi_b32 v94, 0xffff, v97, v96
	v_add_f16_e32 v64, v85, v64
	v_add_f16_e32 v85, v23, v101
	v_fma_f16 v101, v31, 0x388b, -v46
	v_mul_f16_e32 v43, 0xbbf1, v43
	v_add_f16_e32 v47, v23, v47
	v_fmac_f16_e32 v42, 0x2fb7, v31
	v_add_f16_e32 v38, v44, v38
	v_fma_f16 v36, v6, 0x388b, -v75
	v_pk_add_f16 v35, v23, v88 op_sel:[1,0] op_sel_hi:[0,1]
	v_add_f16_e32 v33, v89, v33
	v_add_f16_e32 v44, v23, v45
	v_fmac_f16_e32 v46, 0x388b, v31
	v_add_f16_e32 v7, v7, v34
	v_fma_f16 v6, v6, 0x2fb7, -v86
	v_pk_mul_f16 v98, 0xb9fd2fb7, v26
	v_add_f16_e32 v83, v99, v83
	v_fmamk_f16 v99, v4, 0x3b15, v100
	v_pk_add_f16 v91, v94, v91
	v_add_f16_e32 v85, v101, v85
	v_fma_f16 v94, v30, 0x2fb7, -v43
	v_mul_f16_e32 v50, 0xbb7b, v50
	v_add_f16_e32 v42, v42, v47
	v_fmac_f16_e32 v49, 0x388b, v30
	v_pk_add_f16 v34, v92, v35
	v_add_f16_e32 v33, v93, v33
	v_add_f16_e32 v35, v46, v44
	v_fmac_f16_e32 v43, 0x2fb7, v30
	v_add_f16_e32 v6, v6, v7
	v_fma_f16 v4, v4, 0x3b15, -v100
	v_pk_fma_f16 v102, 0x3bf1b94e, v11, v98 op_sel:[0,0,1] op_sel_hi:[1,1,0]
	v_pk_fma_f16 v98, 0x3bf1b94e, v11, v98 op_sel:[0,0,1] op_sel_hi:[1,1,0] neg_lo:[0,1,0] neg_hi:[0,1,0]
	v_add_f16_e32 v85, v94, v85
	v_fma_f16 v94, v28, 0xb5ac, -v50
	v_mul_f16_e32 v52, 0xb94e, v52
	v_add_f16_e32 v41, v49, v42
	v_fmac_f16_e32 v51, 0xbbc4, v28
	v_pk_add_f16 v7, v95, v34
	v_add_f16_e32 v33, v96, v33
	v_add_f16_e32 v34, v43, v35
	v_fmac_f16_e32 v50, 0xb5ac, v28
	v_add_f16_e32 v4, v4, v6
	v_pk_mul_f16 v6, 0xbbc4, v32 op_sel_hi:[0,1]
	v_pk_mul_f16 v103, 0xbbc43b15, v9
	v_add_f16_e32 v85, v94, v85
	v_fma_f16 v94, v26, 0xb9fd, -v52
	v_add_f16_e32 v41, v51, v41
	v_fmac_f16_e32 v54, 0x3b15, v26
	v_fmac_f16_e32 v60, 0xb5ac, v32
	;; [unrolled: 1-line block ×5, first 2 shown]
	v_add_f16_e32 v32, v98, v33
	v_add_f16_e32 v33, v50, v34
	v_fmac_f16_e32 v52, 0xb9fd, v26
	v_pk_fma_f16 v34, 0xb3a8, v29, v6 op_sel:[0,0,1] op_sel_hi:[0,1,0] neg_lo:[0,1,0] neg_hi:[0,1,0]
	v_pk_mul_f16 v31, 0x3b15, v31 op_sel_hi:[0,1]
	v_pk_fma_f16 v6, 0xb3a8, v29, v6 op_sel:[0,0,1] op_sel_hi:[0,1,0]
	v_bfi_b32 v101, 0xffff, v102, v98
	v_add_f16_e32 v83, v99, v83
	v_pk_fma_f16 v99, 0x3770b3a8, v10, v103 op_sel:[0,0,1] op_sel_hi:[1,1,0]
	v_pk_fma_f16 v104, 0x3770b3a8, v10, v103 op_sel:[0,0,1] op_sel_hi:[1,1,0] neg_lo:[0,1,0] neg_hi:[0,1,0]
	v_add_f16_e32 v37, v40, v37
	v_add_f16_e32 v40, v54, v41
	;; [unrolled: 1-line block ×3, first 2 shown]
	v_fmac_f16_e32 v65, 0x3b15, v30
	v_add_f16_e32 v42, v23, v72
	v_fmac_f16_e32 v77, 0xb5ac, v30
	v_add_f16_e32 v29, v52, v33
	v_pk_add_f16 v33, v23, v34 op_sel:[1,0] op_sel_hi:[0,1]
	v_pk_mul_f16 v30, 0xb9fd, v30 op_sel_hi:[0,1]
	v_pk_add_f16 v6, v23, v6 op_sel:[1,0] op_sel_hi:[0,1]
	v_pk_fma_f16 v23, 0x3770, v27, v31 op_sel:[0,0,1] op_sel_hi:[0,1,0]
	v_mul_f16_e32 v55, 0xb3a8, v55
	v_pk_fma_f16 v34, 0x3770, v27, v31 op_sel:[0,0,1] op_sel_hi:[0,1,0] neg_lo:[0,1,0] neg_hi:[0,1,0]
	v_pk_add_f16 v91, v101, v91
	v_bfi_b32 v99, 0xffff, v99, v104
	v_fmac_f16_e32 v67, 0x2fb7, v28
	v_fmac_f16_e32 v79, 0x3b15, v28
	v_pk_mul_f16 v28, 0x388b, v28 op_sel_hi:[0,1]
	v_pk_add_f16 v6, v23, v6
	v_pk_fma_f16 v23, 0xb94e, v25, v30 op_sel:[0,0,1] op_sel_hi:[0,1,0]
	v_add_f16_e32 v85, v94, v85
	v_fma_f16 v94, v9, 0xbbc4, -v55
	v_fmac_f16_e32 v55, 0xbbc4, v9
	v_pk_add_f16 v27, v34, v33
	v_pk_fma_f16 v31, 0xb94e, v25, v30 op_sel:[0,0,1] op_sel_hi:[0,1,0] neg_lo:[0,1,0] neg_hi:[0,1,0]
	v_add_f16_e32 v41, v62, v41
	v_pk_add_f16 v39, v99, v91
	v_mul_f16_e32 v91, 0xb94e, v10
	v_add_f16_e32 v42, v74, v42
	v_fmac_f16_e32 v69, 0xbbc4, v26
	v_fmac_f16_e32 v76, 0x388b, v26
	v_pk_add_f16 v7, v97, v7
	v_pk_mul_f16 v26, 0xb5ac, v26 op_sel_hi:[0,1]
	v_pk_add_f16 v6, v23, v6
	v_pk_fma_f16 v23, 0x3a95, v24, v28 op_sel:[0,0,1] op_sel_hi:[0,1,0]
	v_add_f16_e32 v25, v55, v29
	v_pk_add_f16 v27, v31, v27
	v_pk_fma_f16 v29, 0x3a95, v24, v28 op_sel:[0,0,1] op_sel_hi:[0,1,0] neg_lo:[0,1,0] neg_hi:[0,1,0]
	v_add_f16_e32 v41, v65, v41
	v_pk_mul_f16 v48, 0x3770b3a8, v10
	v_add_f16_e32 v42, v77, v42
	v_pk_fma_f16 v28, 0xbb7b, v11, v26 op_sel:[0,0,1] op_sel_hi:[0,1,0] neg_lo:[0,1,0] neg_hi:[0,1,0]
	v_pk_add_f16 v6, v23, v6
	v_pk_fma_f16 v11, 0xbb7b, v11, v26 op_sel:[0,0,1] op_sel_hi:[0,1,0]
	v_bfi_b32 v23, 0xffff, v91, v7
	v_fmac_f16_e32 v58, 0xb5ac, v9
	v_fmac_f16_e32 v78, 0x388b, v9
	;; [unrolled: 1-line block ×3, first 2 shown]
	v_pk_add_f16 v27, v29, v27
	v_pk_mul_f16 v9, 0x2fb7, v9 op_sel_hi:[0,1]
	v_add_f16_e32 v41, v67, v41
	v_add_f16_e32 v42, v79, v42
	v_pk_add_f16 v6, v11, v6
	v_pk_add_f16 v11, v81, v23 neg_lo:[0,1] neg_hi:[0,1]
	v_pk_add_f16 v7, v102, v7
	v_pack_b32_f16 v23, v36, v103
	v_bfi_b32 v29, 0xffff, v38, v48
	v_pk_add_f16 v27, v28, v27
	v_pk_fma_f16 v28, 0x3bf1, v10, v9 op_sel:[0,0,1] op_sel_hi:[0,1,0] neg_lo:[0,1,0] neg_hi:[0,1,0]
	v_pk_fma_f16 v9, 0x3bf1, v10, v9 op_sel:[0,0,1] op_sel_hi:[0,1,0]
	v_add_f16_e32 v41, v69, v41
	v_add_f16_e32 v42, v76, v42
	v_pack_b32_f16 v1, v2, v1
	v_bfi_b32 v7, 0xffff, v11, v7
	v_pk_add_f16 v10, v23, v29
	v_add_f16_e32 v85, v94, v85
	v_pk_add_f16 v2, v28, v27
	v_pk_add_f16 v6, v9, v6
	v_add_f16_e32 v40, v58, v40
	v_add_f16_e32 v41, v78, v41
	;; [unrolled: 1-line block ×3, first 2 shown]
	ds_store_2addr_b32 v8, v0, v1 offset1:5
	v_pk_add_f16 v0, v7, v10
	v_add_f16_e32 v32, v104, v32
	v_alignbit_b32 v24, v83, v39, 16
	v_pack_b32_f16 v26, v85, v39
	v_pack_b32_f16 v3, v53, v3
	;; [unrolled: 1-line block ×3, first 2 shown]
	v_alignbit_b32 v1, v2, v6, 16
	v_alignbit_b32 v2, v6, v2, 16
	v_pack_b32_f16 v5, v41, v5
	v_pack_b32_f16 v6, v40, v37
	v_alignbit_b32 v4, v4, v0, 16
	v_pack_b32_f16 v0, v42, v0
	v_pack_b32_f16 v7, v25, v32
	ds_store_2addr_b32 v8, v26, v24 offset0:1 offset1:2
	ds_store_2addr_b32 v8, v9, v3 offset0:3 offset1:4
	;; [unrolled: 1-line block ×5, first 2 shown]
	ds_store_b32 v8, v7 offset:48
.LBB0_18:
	s_wait_alu 0xfffe
	s_or_b32 exec_lo, exec_lo, s6
	v_add_nc_u32_e32 v5, s22, v21
	v_mul_i32_i24_e32 v0, 3, v22
	s_load_b64 s[0:1], s[0:1], 0x0
	global_wb scope:SCOPE_SE
	s_wait_dscnt 0x0
	s_wait_kmcnt 0x0
	s_barrier_signal -1
	v_mul_lo_u32 v6, v5, v22
	v_mul_lo_u32 v5, v5, 13
	v_mov_b32_e32 v1, 0
	s_barrier_wait -1
	global_inv scope:SCOPE_SE
	ds_load_b32 v7, v19 offset:156
	ds_load_b32 v8, v20
	s_add_co_i32 s6, 0, 0xd00
	v_and_b32_e32 v9, 63, v6
	v_lshrrev_b32_e32 v10, 4, v6
	v_lshrrev_b32_e32 v11, 10, v6
	v_add_nc_u32_e32 v6, v6, v5
	v_lshlrev_b64_e32 v[0:1], 2, v[0:1]
	v_lshl_add_u32 v9, v9, 2, 0
	v_and_b32_e32 v10, 0xfc, v10
	v_and_b32_e32 v11, 0xfc, v11
	;; [unrolled: 1-line block ×3, first 2 shown]
	v_lshrrev_b32_e32 v21, 4, v6
	v_add_co_u32 v0, vcc_lo, s24, v0
	s_wait_alu 0xfffd
	v_add_co_ci_u32_e32 v1, vcc_lo, s25, v1, vcc_lo
	v_lshrrev_b32_e32 v22, 10, v6
	v_add_nc_u32_e32 v6, v6, v5
	v_and_b32_e32 v21, 0xfc, v21
	global_load_b96 v[0:2], v[0:1], off
	s_wait_alu 0xfffe
	v_add_nc_u32_e32 v10, s6, v10
	v_and_b32_e32 v22, 0xfc, v22
	v_and_b32_e32 v26, 63, v6
	v_lshrrev_b32_e32 v27, 4, v6
	ds_load_2addr_b32 v[3:4], v19 offset0:13 offset1:26
	v_add_nc_u32_e32 v11, s6, v11
	v_lshrrev_b32_e32 v28, 10, v6
	v_add_nc_u32_e32 v5, v6, v5
	v_add_nc_u32_e32 v6, s6, v21
	;; [unrolled: 1-line block ×3, first 2 shown]
	v_lshl_add_u32 v22, v26, 2, 0
	v_and_b32_e32 v26, 0xfc, v27
	ds_load_b32 v9, v9 offset:3328
	ds_load_b32 v10, v10 offset:256
	v_lshl_add_u32 v20, v20, 2, 0
	ds_load_b32 v11, v11 offset:512
	ds_load_b32 v20, v20 offset:3328
	v_add_nc_u32_e32 v26, s6, v26
	v_lshrrev_b32_e32 v29, 4, v5
	v_and_b32_e32 v27, 0xfc, v28
	v_and_b32_e32 v28, 63, v5
	v_lshrrev_b32_e32 v5, 10, v5
	ds_load_b32 v6, v6 offset:256
	ds_load_b32 v21, v21 offset:512
	ds_load_b32 v22, v22 offset:3328
	ds_load_b32 v26, v26 offset:256
	v_and_b32_e32 v29, 0xfc, v29
	v_add_nc_u32_e32 v27, s6, v27
	v_and_b32_e32 v5, 0xfc, v5
	v_lshl_add_u32 v28, v28, 2, 0
	ds_load_b32 v27, v27 offset:512
	ds_load_b32 v28, v28 offset:3328
	v_add_nc_u32_e32 v29, s6, v29
	v_add_nc_u32_e32 v5, s6, v5
	s_wait_dscnt 0x9
	v_lshrrev_b32_e32 v31, 16, v9
	s_wait_dscnt 0x8
	v_lshrrev_b32_e32 v32, 16, v10
	ds_load_b32 v29, v29 offset:256
	ds_load_b32 v5, v5 offset:512
	s_wait_dscnt 0x8
	v_lshrrev_b32_e32 v34, 16, v20
	v_lshrrev_b32_e32 v33, 16, v11
	v_mul_f16_e32 v35, v31, v32
	v_mul_f16_e32 v32, v9, v32
	s_wait_dscnt 0x7
	v_lshrrev_b32_e32 v36, 16, v6
	s_wait_dscnt 0x5
	v_lshrrev_b32_e32 v38, 16, v22
	v_lshrrev_b32_e32 v37, 16, v21
	v_fma_f16 v9, v9, v10, -v35
	v_fmac_f16_e32 v32, v31, v10
	v_mul_f16_e32 v10, v34, v36
	v_mul_f16_e32 v31, v20, v36
	s_wait_dscnt 0x4
	v_lshrrev_b32_e32 v35, 16, v26
	s_wait_dscnt 0x3
	v_lshrrev_b32_e32 v36, 16, v27
	v_mul_f16_e32 v40, v32, v33
	v_mul_f16_e32 v33, v9, v33
	v_fma_f16 v10, v20, v6, -v10
	v_fmac_f16_e32 v31, v34, v6
	v_mul_f16_e32 v6, v38, v35
	v_mul_f16_e32 v20, v22, v35
	s_wait_dscnt 0x2
	v_lshrrev_b32_e32 v39, 16, v28
	s_wait_dscnt 0x1
	v_lshrrev_b32_e32 v34, 16, v29
	v_fma_f16 v9, v11, v9, -v40
	v_fmac_f16_e32 v33, v11, v32
	v_mul_f16_e32 v11, v31, v37
	v_mul_f16_e32 v32, v10, v37
	v_fmac_f16_e32 v20, v38, v26
	v_fma_f16 v6, v22, v26, -v6
	v_mul_f16_e32 v22, v39, v34
	v_fma_f16 v10, v21, v10, -v11
	v_fmac_f16_e32 v32, v21, v31
	v_mul_f16_e32 v11, v20, v36
	v_mul_f16_e32 v21, v6, v36
	v_lshrrev_b32_e32 v23, 16, v3
	v_lshrrev_b32_e32 v24, 16, v4
	;; [unrolled: 1-line block ×3, first 2 shown]
	v_mul_f16_e32 v26, v28, v34
	v_fma_f16 v22, v28, v29, -v22
	v_fma_f16 v6, v27, v6, -v11
	v_fmac_f16_e32 v21, v27, v20
	v_lshrrev_b32_e32 v30, 16, v8
	v_fmac_f16_e32 v26, v39, v29
	s_wait_dscnt 0x0
	v_lshrrev_b32_e32 v35, 16, v5
	global_wb scope:SCOPE_SE
	s_wait_loadcnt 0x0
	s_barrier_signal -1
	s_barrier_wait -1
	global_inv scope:SCOPE_SE
	v_mul_f16_e32 v27, v26, v35
	v_lshrrev_b32_e32 v11, 16, v0
	v_lshrrev_b32_e32 v20, 16, v1
	;; [unrolled: 1-line block ×3, first 2 shown]
	s_delay_alu instid0(VALU_DEP_3) | instskip(SKIP_1) | instid1(VALU_DEP_4)
	v_mul_f16_e32 v29, v11, v23
	v_mul_f16_e32 v11, v11, v3
	v_mul_f16_e32 v31, v20, v24
	v_mul_f16_e32 v20, v20, v4
	v_mul_f16_e32 v34, v28, v25
	v_mul_f16_e32 v28, v28, v7
	v_fma_f16 v3, v0, v3, -v29
	v_fmac_f16_e32 v11, v0, v23
	v_fma_f16 v0, v1, v4, -v31
	v_fmac_f16_e32 v20, v1, v24
	;; [unrolled: 2-line block ×3, first 2 shown]
	v_mul_f16_e32 v2, v22, v35
	v_sub_f16_e32 v0, v8, v0
	v_sub_f16_e32 v4, v30, v20
	;; [unrolled: 1-line block ×4, first 2 shown]
	v_fma_f16 v20, v5, v22, -v27
	v_fma_f16 v8, v8, 2.0, -v0
	v_fma_f16 v22, v30, 2.0, -v4
	;; [unrolled: 1-line block ×4, first 2 shown]
	v_sub_f16_e32 v7, v0, v7
	v_add_f16_e32 v1, v4, v1
	v_fmac_f16_e32 v2, v5, v26
	v_sub_f16_e32 v3, v8, v3
	v_sub_f16_e32 v5, v22, v11
	v_fma_f16 v0, v0, 2.0, -v7
	v_fma_f16 v4, v4, 2.0, -v1
	v_mul_f16_e32 v11, v1, v2
	v_mul_f16_e32 v2, v7, v2
	v_fma_f16 v8, v8, 2.0, -v3
	v_fma_f16 v22, v22, 2.0, -v5
	v_mul_f16_e32 v25, v5, v21
	v_mul_f16_e32 v21, v3, v21
	;; [unrolled: 1-line block ×4, first 2 shown]
	v_fma_f16 v7, v7, v20, -v11
	v_fmac_f16_e32 v2, v1, v20
	v_mul_f16_e32 v1, v22, v33
	v_mul_f16_e32 v11, v8, v33
	v_fma_f16 v3, v3, v6, -v25
	v_fmac_f16_e32 v21, v5, v6
	v_fma_f16 v0, v0, v10, -v23
	v_fmac_f16_e32 v24, v4, v10
	;; [unrolled: 2-line block ×3, first 2 shown]
	v_pack_b32_f16 v2, v7, v2
	v_pack_b32_f16 v3, v3, v21
	;; [unrolled: 1-line block ×3, first 2 shown]
	s_delay_alu instid0(VALU_DEP_4)
	v_pack_b32_f16 v1, v1, v11
	ds_store_2addr_b32 v19, v3, v2 offset0:26 offset1:39
	ds_store_2addr_b32 v19, v1, v0 offset1:13
	global_wb scope:SCOPE_SE
	s_wait_dscnt 0x0
	s_barrier_signal -1
	s_barrier_wait -1
	global_inv scope:SCOPE_SE
	s_and_saveexec_b32 s6, s8
	s_cbranch_execz .LBB0_20
; %bb.19:
	v_mad_co_u64_u32 v[0:1], null, s14, v14, 0
	v_mad_co_u64_u32 v[2:3], null, s12, v15, 0
	;; [unrolled: 1-line block ×3, first 2 shown]
	s_mul_u64 s[0:1], s[0:1], s[20:21]
	s_lshl_b64 s[4:5], s[4:5], 2
	s_wait_alu 0xfffe
	s_lshl_b64 s[0:1], s[0:1], 2
	v_mad_co_u64_u32 v[6:7], null, s12, v13, 0
	s_delay_alu instid0(VALU_DEP_3) | instskip(NEXT) | instid1(VALU_DEP_3)
	v_mad_co_u64_u32 v[8:9], null, s15, v14, v[1:2]
	v_mov_b32_e32 v1, v5
	v_mad_co_u64_u32 v[9:10], null, s13, v15, v[3:4]
	s_wait_alu 0xfffe
	s_add_nc_u64 s[0:1], s[2:3], s[0:1]
	v_add3_u32 v15, 0, v16, v17
	v_mad_co_u64_u32 v[10:11], null, s13, v18, v[1:2]
	v_mov_b32_e32 v1, v8
	s_wait_alu 0xfffe
	s_add_nc_u64 s[0:1], s[0:1], s[4:5]
	v_mov_b32_e32 v3, v9
	v_mad_co_u64_u32 v[8:9], null, s12, v12, 0
	v_lshlrev_b64_e32 v[0:1], 2, v[0:1]
	v_mov_b32_e32 v5, v10
	s_wait_alu 0xfffe
	s_delay_alu instid0(VALU_DEP_2) | instskip(NEXT) | instid1(VALU_DEP_4)
	v_add_co_u32 v17, vcc_lo, s0, v0
	v_mov_b32_e32 v0, v9
	s_wait_alu 0xfffd
	v_add_co_ci_u32_e32 v18, vcc_lo, s1, v1, vcc_lo
	v_lshlrev_b64_e32 v[1:2], 2, v[2:3]
	v_mad_co_u64_u32 v[10:11], null, s13, v13, v[7:8]
	ds_load_2addr_b32 v[13:14], v15 offset1:13
	ds_load_2addr_b32 v[15:16], v15 offset0:26 offset1:39
	v_lshlrev_b64_e32 v[3:4], 2, v[4:5]
	v_mad_co_u64_u32 v[11:12], null, s13, v12, v[0:1]
	v_add_co_u32 v0, vcc_lo, v17, v1
	v_mov_b32_e32 v7, v10
	s_wait_alu 0xfffd
	v_add_co_ci_u32_e32 v1, vcc_lo, v18, v2, vcc_lo
	v_add_co_u32 v2, vcc_lo, v17, v3
	v_mov_b32_e32 v9, v11
	v_lshlrev_b64_e32 v[5:6], 2, v[6:7]
	s_wait_alu 0xfffd
	v_add_co_ci_u32_e32 v3, vcc_lo, v18, v4, vcc_lo
	s_delay_alu instid0(VALU_DEP_3) | instskip(NEXT) | instid1(VALU_DEP_3)
	v_lshlrev_b64_e32 v[7:8], 2, v[8:9]
	v_add_co_u32 v4, vcc_lo, v17, v5
	s_wait_alu 0xfffd
	v_add_co_ci_u32_e32 v5, vcc_lo, v18, v6, vcc_lo
	s_delay_alu instid0(VALU_DEP_3)
	v_add_co_u32 v6, vcc_lo, v17, v7
	s_wait_alu 0xfffd
	v_add_co_ci_u32_e32 v7, vcc_lo, v18, v8, vcc_lo
	s_wait_dscnt 0x1
	s_clause 0x1
	global_store_b32 v[0:1], v13, off
	global_store_b32 v[2:3], v14, off
	s_wait_dscnt 0x0
	s_clause 0x1
	global_store_b32 v[4:5], v15, off
	global_store_b32 v[6:7], v16, off
.LBB0_20:
	s_nop 0
	s_sendmsg sendmsg(MSG_DEALLOC_VGPRS)
	s_endpgm
	.section	.rodata,"a",@progbits
	.p2align	6, 0x0
	.amdhsa_kernel fft_rtc_fwd_len52_factors_13_4_wgs_208_tpt_13_half_op_CI_CI_sbcc_twdbase6_3step
		.amdhsa_group_segment_fixed_size 0
		.amdhsa_private_segment_fixed_size 0
		.amdhsa_kernarg_size 112
		.amdhsa_user_sgpr_count 2
		.amdhsa_user_sgpr_dispatch_ptr 0
		.amdhsa_user_sgpr_queue_ptr 0
		.amdhsa_user_sgpr_kernarg_segment_ptr 1
		.amdhsa_user_sgpr_dispatch_id 0
		.amdhsa_user_sgpr_private_segment_size 0
		.amdhsa_wavefront_size32 1
		.amdhsa_uses_dynamic_stack 0
		.amdhsa_enable_private_segment 0
		.amdhsa_system_sgpr_workgroup_id_x 1
		.amdhsa_system_sgpr_workgroup_id_y 0
		.amdhsa_system_sgpr_workgroup_id_z 0
		.amdhsa_system_sgpr_workgroup_info 0
		.amdhsa_system_vgpr_workitem_id 0
		.amdhsa_next_free_vgpr 105
		.amdhsa_next_free_sgpr 59
		.amdhsa_reserve_vcc 1
		.amdhsa_float_round_mode_32 0
		.amdhsa_float_round_mode_16_64 0
		.amdhsa_float_denorm_mode_32 3
		.amdhsa_float_denorm_mode_16_64 3
		.amdhsa_fp16_overflow 0
		.amdhsa_workgroup_processor_mode 1
		.amdhsa_memory_ordered 1
		.amdhsa_forward_progress 0
		.amdhsa_round_robin_scheduling 0
		.amdhsa_exception_fp_ieee_invalid_op 0
		.amdhsa_exception_fp_denorm_src 0
		.amdhsa_exception_fp_ieee_div_zero 0
		.amdhsa_exception_fp_ieee_overflow 0
		.amdhsa_exception_fp_ieee_underflow 0
		.amdhsa_exception_fp_ieee_inexact 0
		.amdhsa_exception_int_div_zero 0
	.end_amdhsa_kernel
	.text
.Lfunc_end0:
	.size	fft_rtc_fwd_len52_factors_13_4_wgs_208_tpt_13_half_op_CI_CI_sbcc_twdbase6_3step, .Lfunc_end0-fft_rtc_fwd_len52_factors_13_4_wgs_208_tpt_13_half_op_CI_CI_sbcc_twdbase6_3step
                                        ; -- End function
	.section	.AMDGPU.csdata,"",@progbits
; Kernel info:
; codeLenInByte = 6300
; NumSgprs: 61
; NumVgprs: 105
; ScratchSize: 0
; MemoryBound: 0
; FloatMode: 240
; IeeeMode: 1
; LDSByteSize: 0 bytes/workgroup (compile time only)
; SGPRBlocks: 7
; VGPRBlocks: 13
; NumSGPRsForWavesPerEU: 61
; NumVGPRsForWavesPerEU: 105
; Occupancy: 12
; WaveLimiterHint : 1
; COMPUTE_PGM_RSRC2:SCRATCH_EN: 0
; COMPUTE_PGM_RSRC2:USER_SGPR: 2
; COMPUTE_PGM_RSRC2:TRAP_HANDLER: 0
; COMPUTE_PGM_RSRC2:TGID_X_EN: 1
; COMPUTE_PGM_RSRC2:TGID_Y_EN: 0
; COMPUTE_PGM_RSRC2:TGID_Z_EN: 0
; COMPUTE_PGM_RSRC2:TIDIG_COMP_CNT: 0
	.text
	.p2alignl 7, 3214868480
	.fill 96, 4, 3214868480
	.type	__hip_cuid_c107dc0aadb48ca4,@object ; @__hip_cuid_c107dc0aadb48ca4
	.section	.bss,"aw",@nobits
	.globl	__hip_cuid_c107dc0aadb48ca4
__hip_cuid_c107dc0aadb48ca4:
	.byte	0                               ; 0x0
	.size	__hip_cuid_c107dc0aadb48ca4, 1

	.ident	"AMD clang version 19.0.0git (https://github.com/RadeonOpenCompute/llvm-project roc-6.4.0 25133 c7fe45cf4b819c5991fe208aaa96edf142730f1d)"
	.section	".note.GNU-stack","",@progbits
	.addrsig
	.addrsig_sym __hip_cuid_c107dc0aadb48ca4
	.amdgpu_metadata
---
amdhsa.kernels:
  - .args:
      - .actual_access:  read_only
        .address_space:  global
        .offset:         0
        .size:           8
        .value_kind:     global_buffer
      - .address_space:  global
        .offset:         8
        .size:           8
        .value_kind:     global_buffer
      - .offset:         16
        .size:           8
        .value_kind:     by_value
      - .actual_access:  read_only
        .address_space:  global
        .offset:         24
        .size:           8
        .value_kind:     global_buffer
      - .actual_access:  read_only
        .address_space:  global
        .offset:         32
        .size:           8
        .value_kind:     global_buffer
      - .actual_access:  read_only
        .address_space:  global
        .offset:         40
        .size:           8
        .value_kind:     global_buffer
      - .offset:         48
        .size:           8
        .value_kind:     by_value
      - .actual_access:  read_only
        .address_space:  global
        .offset:         56
        .size:           8
        .value_kind:     global_buffer
      - .actual_access:  read_only
        .address_space:  global
        .offset:         64
        .size:           8
        .value_kind:     global_buffer
      - .offset:         72
        .size:           4
        .value_kind:     by_value
      - .actual_access:  read_only
        .address_space:  global
        .offset:         80
        .size:           8
        .value_kind:     global_buffer
      - .actual_access:  read_only
        .address_space:  global
        .offset:         88
        .size:           8
        .value_kind:     global_buffer
      - .actual_access:  read_only
        .address_space:  global
        .offset:         96
        .size:           8
        .value_kind:     global_buffer
      - .actual_access:  write_only
        .address_space:  global
        .offset:         104
        .size:           8
        .value_kind:     global_buffer
    .group_segment_fixed_size: 0
    .kernarg_segment_align: 8
    .kernarg_segment_size: 112
    .language:       OpenCL C
    .language_version:
      - 2
      - 0
    .max_flat_workgroup_size: 208
    .name:           fft_rtc_fwd_len52_factors_13_4_wgs_208_tpt_13_half_op_CI_CI_sbcc_twdbase6_3step
    .private_segment_fixed_size: 0
    .sgpr_count:     61
    .sgpr_spill_count: 0
    .symbol:         fft_rtc_fwd_len52_factors_13_4_wgs_208_tpt_13_half_op_CI_CI_sbcc_twdbase6_3step.kd
    .uniform_work_group_size: 1
    .uses_dynamic_stack: false
    .vgpr_count:     105
    .vgpr_spill_count: 0
    .wavefront_size: 32
    .workgroup_processor_mode: 1
amdhsa.target:   amdgcn-amd-amdhsa--gfx1201
amdhsa.version:
  - 1
  - 2
...

	.end_amdgpu_metadata
